;; amdgpu-corpus repo=ROCm/rocFFT kind=compiled arch=gfx1201 opt=O3
	.text
	.amdgcn_target "amdgcn-amd-amdhsa--gfx1201"
	.amdhsa_code_object_version 6
	.protected	fft_rtc_fwd_len2048_factors_16_16_8_wgs_256_tpt_256_halfLds_dp_op_CI_CI_unitstride_sbrr_R2C_dirReg ; -- Begin function fft_rtc_fwd_len2048_factors_16_16_8_wgs_256_tpt_256_halfLds_dp_op_CI_CI_unitstride_sbrr_R2C_dirReg
	.globl	fft_rtc_fwd_len2048_factors_16_16_8_wgs_256_tpt_256_halfLds_dp_op_CI_CI_unitstride_sbrr_R2C_dirReg
	.p2align	8
	.type	fft_rtc_fwd_len2048_factors_16_16_8_wgs_256_tpt_256_halfLds_dp_op_CI_CI_unitstride_sbrr_R2C_dirReg,@function
fft_rtc_fwd_len2048_factors_16_16_8_wgs_256_tpt_256_halfLds_dp_op_CI_CI_unitstride_sbrr_R2C_dirReg: ; @fft_rtc_fwd_len2048_factors_16_16_8_wgs_256_tpt_256_halfLds_dp_op_CI_CI_unitstride_sbrr_R2C_dirReg
; %bb.0:
	s_clause 0x2
	s_load_b128 s[8:11], s[0:1], 0x0
	s_load_b128 s[4:7], s[0:1], 0x58
	;; [unrolled: 1-line block ×3, first 2 shown]
	v_mov_b32_e32 v3, 0
	v_mov_b32_e32 v1, 0
	v_dual_mov_b32 v2, 0 :: v_dual_mov_b32 v5, ttmp9
	s_mov_b32 s3, 0
	s_delay_alu instid0(VALU_DEP_3) | instskip(SKIP_2) | instid1(VALU_DEP_1)
	v_mov_b32_e32 v6, v3
	s_wait_kmcnt 0x0
	v_cmp_lt_u64_e64 s2, s[10:11], 2
	s_and_b32 vcc_lo, exec_lo, s2
	s_cbranch_vccnz .LBB0_8
; %bb.1:
	s_load_b64 s[20:21], s[0:1], 0x10
	v_mov_b32_e32 v1, 0
	v_mov_b32_e32 v2, 0
	s_add_nc_u64 s[16:17], s[14:15], 8
	s_add_nc_u64 s[18:19], s[12:13], 8
	s_mov_b64 s[22:23], 1
	s_delay_alu instid0(VALU_DEP_1)
	v_dual_mov_b32 v66, v2 :: v_dual_mov_b32 v65, v1
	s_wait_kmcnt 0x0
	s_add_nc_u64 s[20:21], s[20:21], 8
.LBB0_2:                                ; =>This Inner Loop Header: Depth=1
	s_load_b64 s[24:25], s[20:21], 0x0
                                        ; implicit-def: $vgpr67_vgpr68
	s_mov_b32 s2, exec_lo
	s_wait_kmcnt 0x0
	v_or_b32_e32 v4, s25, v6
	s_delay_alu instid0(VALU_DEP_1)
	v_cmpx_ne_u64_e32 0, v[3:4]
	s_wait_alu 0xfffe
	s_xor_b32 s26, exec_lo, s2
	s_cbranch_execz .LBB0_4
; %bb.3:                                ;   in Loop: Header=BB0_2 Depth=1
	s_cvt_f32_u32 s2, s24
	s_cvt_f32_u32 s27, s25
	s_sub_nc_u64 s[30:31], 0, s[24:25]
	s_wait_alu 0xfffe
	s_delay_alu instid0(SALU_CYCLE_1) | instskip(SKIP_1) | instid1(SALU_CYCLE_2)
	s_fmamk_f32 s2, s27, 0x4f800000, s2
	s_wait_alu 0xfffe
	v_s_rcp_f32 s2, s2
	s_delay_alu instid0(TRANS32_DEP_1) | instskip(SKIP_1) | instid1(SALU_CYCLE_2)
	s_mul_f32 s2, s2, 0x5f7ffffc
	s_wait_alu 0xfffe
	s_mul_f32 s27, s2, 0x2f800000
	s_wait_alu 0xfffe
	s_delay_alu instid0(SALU_CYCLE_2) | instskip(SKIP_1) | instid1(SALU_CYCLE_2)
	s_trunc_f32 s27, s27
	s_wait_alu 0xfffe
	s_fmamk_f32 s2, s27, 0xcf800000, s2
	s_cvt_u32_f32 s29, s27
	s_wait_alu 0xfffe
	s_delay_alu instid0(SALU_CYCLE_1) | instskip(SKIP_1) | instid1(SALU_CYCLE_2)
	s_cvt_u32_f32 s28, s2
	s_wait_alu 0xfffe
	s_mul_u64 s[34:35], s[30:31], s[28:29]
	s_wait_alu 0xfffe
	s_mul_hi_u32 s37, s28, s35
	s_mul_i32 s36, s28, s35
	s_mul_hi_u32 s2, s28, s34
	s_mul_i32 s33, s29, s34
	s_wait_alu 0xfffe
	s_add_nc_u64 s[36:37], s[2:3], s[36:37]
	s_mul_hi_u32 s27, s29, s34
	s_mul_hi_u32 s38, s29, s35
	s_add_co_u32 s2, s36, s33
	s_wait_alu 0xfffe
	s_add_co_ci_u32 s2, s37, s27
	s_mul_i32 s34, s29, s35
	s_add_co_ci_u32 s35, s38, 0
	s_wait_alu 0xfffe
	s_add_nc_u64 s[34:35], s[2:3], s[34:35]
	s_wait_alu 0xfffe
	v_add_co_u32 v4, s2, s28, s34
	s_delay_alu instid0(VALU_DEP_1) | instskip(SKIP_1) | instid1(VALU_DEP_1)
	s_cmp_lg_u32 s2, 0
	s_add_co_ci_u32 s29, s29, s35
	v_readfirstlane_b32 s28, v4
	s_wait_alu 0xfffe
	s_delay_alu instid0(VALU_DEP_1)
	s_mul_u64 s[30:31], s[30:31], s[28:29]
	s_wait_alu 0xfffe
	s_mul_hi_u32 s35, s28, s31
	s_mul_i32 s34, s28, s31
	s_mul_hi_u32 s2, s28, s30
	s_mul_i32 s33, s29, s30
	s_wait_alu 0xfffe
	s_add_nc_u64 s[34:35], s[2:3], s[34:35]
	s_mul_hi_u32 s27, s29, s30
	s_mul_hi_u32 s28, s29, s31
	s_wait_alu 0xfffe
	s_add_co_u32 s2, s34, s33
	s_add_co_ci_u32 s2, s35, s27
	s_mul_i32 s30, s29, s31
	s_add_co_ci_u32 s31, s28, 0
	s_wait_alu 0xfffe
	s_add_nc_u64 s[30:31], s[2:3], s[30:31]
	s_wait_alu 0xfffe
	v_add_co_u32 v4, s2, v4, s30
	s_delay_alu instid0(VALU_DEP_1) | instskip(SKIP_1) | instid1(VALU_DEP_1)
	s_cmp_lg_u32 s2, 0
	s_add_co_ci_u32 s2, s29, s31
	v_mul_hi_u32 v13, v5, v4
	s_wait_alu 0xfffe
	v_mad_co_u64_u32 v[7:8], null, v5, s2, 0
	v_mad_co_u64_u32 v[9:10], null, v6, v4, 0
	;; [unrolled: 1-line block ×3, first 2 shown]
	s_delay_alu instid0(VALU_DEP_3) | instskip(SKIP_1) | instid1(VALU_DEP_4)
	v_add_co_u32 v4, vcc_lo, v13, v7
	s_wait_alu 0xfffd
	v_add_co_ci_u32_e32 v7, vcc_lo, 0, v8, vcc_lo
	s_delay_alu instid0(VALU_DEP_2) | instskip(SKIP_1) | instid1(VALU_DEP_2)
	v_add_co_u32 v4, vcc_lo, v4, v9
	s_wait_alu 0xfffd
	v_add_co_ci_u32_e32 v4, vcc_lo, v7, v10, vcc_lo
	s_wait_alu 0xfffd
	v_add_co_ci_u32_e32 v7, vcc_lo, 0, v12, vcc_lo
	s_delay_alu instid0(VALU_DEP_2) | instskip(SKIP_1) | instid1(VALU_DEP_2)
	v_add_co_u32 v4, vcc_lo, v4, v11
	s_wait_alu 0xfffd
	v_add_co_ci_u32_e32 v9, vcc_lo, 0, v7, vcc_lo
	s_delay_alu instid0(VALU_DEP_2) | instskip(SKIP_1) | instid1(VALU_DEP_3)
	v_mul_lo_u32 v10, s25, v4
	v_mad_co_u64_u32 v[7:8], null, s24, v4, 0
	v_mul_lo_u32 v11, s24, v9
	s_delay_alu instid0(VALU_DEP_2) | instskip(NEXT) | instid1(VALU_DEP_2)
	v_sub_co_u32 v7, vcc_lo, v5, v7
	v_add3_u32 v8, v8, v11, v10
	s_delay_alu instid0(VALU_DEP_1) | instskip(SKIP_1) | instid1(VALU_DEP_1)
	v_sub_nc_u32_e32 v10, v6, v8
	s_wait_alu 0xfffd
	v_subrev_co_ci_u32_e64 v10, s2, s25, v10, vcc_lo
	v_add_co_u32 v11, s2, v4, 2
	s_wait_alu 0xf1ff
	v_add_co_ci_u32_e64 v12, s2, 0, v9, s2
	v_sub_co_u32 v13, s2, v7, s24
	v_sub_co_ci_u32_e32 v8, vcc_lo, v6, v8, vcc_lo
	s_wait_alu 0xf1ff
	v_subrev_co_ci_u32_e64 v10, s2, 0, v10, s2
	s_delay_alu instid0(VALU_DEP_3) | instskip(NEXT) | instid1(VALU_DEP_3)
	v_cmp_le_u32_e32 vcc_lo, s24, v13
	v_cmp_eq_u32_e64 s2, s25, v8
	s_wait_alu 0xfffd
	v_cndmask_b32_e64 v13, 0, -1, vcc_lo
	v_cmp_le_u32_e32 vcc_lo, s25, v10
	s_wait_alu 0xfffd
	v_cndmask_b32_e64 v14, 0, -1, vcc_lo
	v_cmp_le_u32_e32 vcc_lo, s24, v7
	;; [unrolled: 3-line block ×3, first 2 shown]
	s_wait_alu 0xfffd
	v_cndmask_b32_e64 v15, 0, -1, vcc_lo
	v_cmp_eq_u32_e32 vcc_lo, s25, v10
	s_wait_alu 0xf1ff
	s_delay_alu instid0(VALU_DEP_2)
	v_cndmask_b32_e64 v7, v15, v7, s2
	s_wait_alu 0xfffd
	v_cndmask_b32_e32 v10, v14, v13, vcc_lo
	v_add_co_u32 v13, vcc_lo, v4, 1
	s_wait_alu 0xfffd
	v_add_co_ci_u32_e32 v14, vcc_lo, 0, v9, vcc_lo
	s_delay_alu instid0(VALU_DEP_3) | instskip(SKIP_2) | instid1(VALU_DEP_3)
	v_cmp_ne_u32_e32 vcc_lo, 0, v10
	s_wait_alu 0xfffd
	v_cndmask_b32_e32 v10, v13, v11, vcc_lo
	v_cndmask_b32_e32 v8, v14, v12, vcc_lo
	v_cmp_ne_u32_e32 vcc_lo, 0, v7
	s_wait_alu 0xfffd
	s_delay_alu instid0(VALU_DEP_2)
	v_dual_cndmask_b32 v67, v4, v10 :: v_dual_cndmask_b32 v68, v9, v8
.LBB0_4:                                ;   in Loop: Header=BB0_2 Depth=1
	s_wait_alu 0xfffe
	s_and_not1_saveexec_b32 s2, s26
	s_cbranch_execz .LBB0_6
; %bb.5:                                ;   in Loop: Header=BB0_2 Depth=1
	v_cvt_f32_u32_e32 v4, s24
	s_sub_co_i32 s26, 0, s24
	v_mov_b32_e32 v68, v3
	s_delay_alu instid0(VALU_DEP_2) | instskip(NEXT) | instid1(TRANS32_DEP_1)
	v_rcp_iflag_f32_e32 v4, v4
	v_mul_f32_e32 v4, 0x4f7ffffe, v4
	s_delay_alu instid0(VALU_DEP_1) | instskip(SKIP_1) | instid1(VALU_DEP_1)
	v_cvt_u32_f32_e32 v4, v4
	s_wait_alu 0xfffe
	v_mul_lo_u32 v7, s26, v4
	s_delay_alu instid0(VALU_DEP_1) | instskip(NEXT) | instid1(VALU_DEP_1)
	v_mul_hi_u32 v7, v4, v7
	v_add_nc_u32_e32 v4, v4, v7
	s_delay_alu instid0(VALU_DEP_1) | instskip(NEXT) | instid1(VALU_DEP_1)
	v_mul_hi_u32 v4, v5, v4
	v_mul_lo_u32 v7, v4, s24
	v_add_nc_u32_e32 v8, 1, v4
	s_delay_alu instid0(VALU_DEP_2) | instskip(NEXT) | instid1(VALU_DEP_1)
	v_sub_nc_u32_e32 v7, v5, v7
	v_subrev_nc_u32_e32 v9, s24, v7
	v_cmp_le_u32_e32 vcc_lo, s24, v7
	s_wait_alu 0xfffd
	s_delay_alu instid0(VALU_DEP_2) | instskip(NEXT) | instid1(VALU_DEP_1)
	v_dual_cndmask_b32 v7, v7, v9 :: v_dual_cndmask_b32 v4, v4, v8
	v_cmp_le_u32_e32 vcc_lo, s24, v7
	s_delay_alu instid0(VALU_DEP_2) | instskip(SKIP_1) | instid1(VALU_DEP_1)
	v_add_nc_u32_e32 v8, 1, v4
	s_wait_alu 0xfffd
	v_cndmask_b32_e32 v67, v4, v8, vcc_lo
.LBB0_6:                                ;   in Loop: Header=BB0_2 Depth=1
	s_wait_alu 0xfffe
	s_or_b32 exec_lo, exec_lo, s2
	v_mul_lo_u32 v4, v68, s24
	s_delay_alu instid0(VALU_DEP_2)
	v_mul_lo_u32 v9, v67, s25
	s_load_b64 s[26:27], s[18:19], 0x0
	v_mad_co_u64_u32 v[7:8], null, v67, s24, 0
	s_load_b64 s[24:25], s[16:17], 0x0
	s_add_nc_u64 s[22:23], s[22:23], 1
	s_add_nc_u64 s[16:17], s[16:17], 8
	s_wait_alu 0xfffe
	v_cmp_ge_u64_e64 s2, s[22:23], s[10:11]
	s_add_nc_u64 s[18:19], s[18:19], 8
	s_add_nc_u64 s[20:21], s[20:21], 8
	v_add3_u32 v4, v8, v9, v4
	v_sub_co_u32 v5, vcc_lo, v5, v7
	s_wait_alu 0xfffd
	s_delay_alu instid0(VALU_DEP_2) | instskip(SKIP_2) | instid1(VALU_DEP_1)
	v_sub_co_ci_u32_e32 v4, vcc_lo, v6, v4, vcc_lo
	s_and_b32 vcc_lo, exec_lo, s2
	s_wait_kmcnt 0x0
	v_mul_lo_u32 v6, s26, v4
	v_mul_lo_u32 v7, s27, v5
	v_mad_co_u64_u32 v[1:2], null, s26, v5, v[1:2]
	v_mul_lo_u32 v4, s24, v4
	v_mul_lo_u32 v8, s25, v5
	v_mad_co_u64_u32 v[65:66], null, s24, v5, v[65:66]
	s_delay_alu instid0(VALU_DEP_4) | instskip(NEXT) | instid1(VALU_DEP_2)
	v_add3_u32 v2, v7, v2, v6
	v_add3_u32 v66, v8, v66, v4
	s_wait_alu 0xfffe
	s_cbranch_vccnz .LBB0_9
; %bb.7:                                ;   in Loop: Header=BB0_2 Depth=1
	v_dual_mov_b32 v5, v67 :: v_dual_mov_b32 v6, v68
	s_branch .LBB0_2
.LBB0_8:
	v_dual_mov_b32 v66, v2 :: v_dual_mov_b32 v65, v1
	v_dual_mov_b32 v68, v6 :: v_dual_mov_b32 v67, v5
.LBB0_9:
	s_load_b64 s[0:1], s[0:1], 0x28
	s_wait_kmcnt 0x0
	s_delay_alu instid0(VALU_DEP_1) | instskip(SKIP_1) | instid1(VALU_DEP_1)
	v_cmp_gt_u64_e32 vcc_lo, s[0:1], v[67:68]
	v_cmp_le_u64_e64 s0, s[0:1], v[67:68]
	s_and_saveexec_b32 s1, s0
	s_wait_alu 0xfffe
	s_xor_b32 s0, exec_lo, s1
; %bb.10:
                                        ; implicit-def: $vgpr1_vgpr2
; %bb.11:
	s_wait_alu 0xfffe
	s_or_saveexec_b32 s1, s0
	v_lshlrev_b32_e32 v70, 4, v0
	s_wait_alu 0xfffe
	s_xor_b32 exec_lo, exec_lo, s1
	s_cbranch_execz .LBB0_13
; %bb.12:
	s_lshl_b64 s[2:3], s[10:11], 3
	v_lshlrev_b64_e32 v[1:2], 4, v[1:2]
	s_wait_alu 0xfffe
	s_add_nc_u64 s[2:3], s[12:13], s[2:3]
	v_or_b32_e32 v33, 0x3000, v70
	s_load_b64 s[2:3], s[2:3], 0x0
	v_or_b32_e32 v34, 0x7000, v70
	v_add_nc_u32_e32 v35, 0, v70
	s_wait_kmcnt 0x0
	v_mul_lo_u32 v5, s3, v67
	v_mul_lo_u32 v6, s2, v68
	v_mad_co_u64_u32 v[3:4], null, s2, v67, 0
	s_delay_alu instid0(VALU_DEP_1) | instskip(NEXT) | instid1(VALU_DEP_1)
	v_add3_u32 v4, v4, v6, v5
	v_lshlrev_b64_e32 v[3:4], 4, v[3:4]
	s_delay_alu instid0(VALU_DEP_1) | instskip(SKIP_1) | instid1(VALU_DEP_2)
	v_add_co_u32 v3, s0, s4, v3
	s_wait_alu 0xf1ff
	v_add_co_ci_u32_e64 v4, s0, s5, v4, s0
	s_delay_alu instid0(VALU_DEP_2) | instskip(SKIP_1) | instid1(VALU_DEP_2)
	v_add_co_u32 v1, s0, v3, v1
	s_wait_alu 0xf1ff
	v_add_co_ci_u32_e64 v2, s0, v4, v2, s0
	s_delay_alu instid0(VALU_DEP_2) | instskip(SKIP_1) | instid1(VALU_DEP_2)
	v_add_co_u32 v21, s0, v1, v70
	s_wait_alu 0xf1ff
	v_add_co_ci_u32_e64 v22, s0, 0, v2, s0
	v_add_co_u32 v25, s0, v1, v33
	s_wait_alu 0xf1ff
	v_add_co_ci_u32_e64 v26, s0, 0, v2, s0
	;; [unrolled: 3-line block ×3, first 2 shown]
	s_clause 0x7
	global_load_b128 v[1:4], v[21:22], off
	global_load_b128 v[5:8], v[21:22], off offset:4096
	global_load_b128 v[9:12], v[21:22], off offset:8192
	;; [unrolled: 1-line block ×5, first 2 shown]
	global_load_b128 v[25:28], v[25:26], off
	global_load_b128 v[29:32], v[29:30], off
	v_add_nc_u32_e32 v33, 0, v33
	v_add_nc_u32_e32 v34, 0, v34
	s_wait_loadcnt 0x7
	ds_store_b128 v35, v[1:4]
	s_wait_loadcnt 0x6
	ds_store_b128 v35, v[5:8] offset:4096
	s_wait_loadcnt 0x5
	ds_store_b128 v35, v[9:12] offset:8192
	;; [unrolled: 2-line block ×5, first 2 shown]
	s_wait_loadcnt 0x1
	ds_store_b128 v33, v[25:28]
	s_wait_loadcnt 0x0
	ds_store_b128 v34, v[29:32]
.LBB0_13:
	s_or_b32 exec_lo, exec_lo, s1
	v_lshl_add_u32 v69, v0, 4, 0
	global_wb scope:SCOPE_SE
	s_wait_dscnt 0x0
	s_barrier_signal -1
	s_barrier_wait -1
	global_inv scope:SCOPE_SE
	ds_load_b128 v[1:4], v69 offset:16384
	ds_load_b128 v[5:8], v69
	ds_load_b128 v[9:12], v69 offset:8192
	ds_load_b128 v[13:16], v69 offset:24576
	;; [unrolled: 1-line block ×14, first 2 shown]
	s_mov_b32 s0, 0x667f3bcd
	s_mov_b32 s1, 0xbfe6a09e
	;; [unrolled: 1-line block ×3, first 2 shown]
	s_wait_alu 0xfffe
	s_mov_b32 s2, s0
	s_mov_b32 s4, 0xcf328d46
	s_wait_dscnt 0xe
	v_add_f64_e64 v[1:2], v[5:6], -v[1:2]
	v_add_f64_e64 v[3:4], v[7:8], -v[3:4]
	s_wait_dscnt 0xc
	v_add_f64_e64 v[13:14], v[9:10], -v[13:14]
	v_add_f64_e64 v[15:16], v[11:12], -v[15:16]
	;; [unrolled: 3-line block ×8, first 2 shown]
	s_mov_b32 s12, 0xa6aea964
	s_mov_b32 s5, 0xbfed906b
	;; [unrolled: 1-line block ×5, first 2 shown]
	s_wait_alu 0xfffe
	s_mov_b32 s18, s4
	s_mov_b32 s16, s12
	global_wb scope:SCOPE_SE
	s_barrier_signal -1
	s_barrier_wait -1
	global_inv scope:SCOPE_SE
	v_fma_f64 v[5:6], v[5:6], 2.0, -v[1:2]
	v_fma_f64 v[7:8], v[7:8], 2.0, -v[3:4]
	v_add_f64_e32 v[73:74], v[3:4], v[13:14]
	v_add_f64_e64 v[71:72], v[1:2], -v[15:16]
	v_fma_f64 v[9:10], v[9:10], 2.0, -v[13:14]
	v_fma_f64 v[11:12], v[11:12], 2.0, -v[15:16]
	v_add_f64_e32 v[77:78], v[23:24], v[29:30]
	v_add_f64_e64 v[75:76], v[21:22], -v[31:32]
	;; [unrolled: 4-line block ×3, first 2 shown]
	v_fma_f64 v[17:18], v[25:26], 2.0, -v[29:30]
	v_fma_f64 v[19:20], v[27:28], 2.0, -v[31:32]
	v_add_f64_e64 v[83:84], v[53:54], -v[63:64]
	v_add_f64_e32 v[85:86], v[55:56], v[61:62]
	v_fma_f64 v[25:26], v[33:34], 2.0, -v[37:38]
	v_fma_f64 v[27:28], v[35:36], 2.0, -v[39:40]
	v_fma_f64 v[29:30], v[41:42], 2.0, -v[45:46]
	v_fma_f64 v[31:32], v[43:44], 2.0, -v[47:48]
	v_fma_f64 v[33:34], v[49:50], 2.0, -v[53:54]
	v_fma_f64 v[35:36], v[51:52], 2.0, -v[55:56]
	v_fma_f64 v[41:42], v[59:60], 2.0, -v[63:64]
	v_fma_f64 v[43:44], v[57:58], 2.0, -v[61:62]
	v_fma_f64 v[3:4], v[3:4], 2.0, -v[73:74]
	v_fma_f64 v[1:2], v[1:2], 2.0, -v[71:72]
	v_add_f64_e64 v[9:10], v[5:6], -v[9:10]
	v_add_f64_e64 v[11:12], v[7:8], -v[11:12]
	v_fma_f64 v[23:24], v[23:24], 2.0, -v[77:78]
	v_fma_f64 v[21:22], v[21:22], 2.0, -v[75:76]
	v_fma_f64 v[49:50], v[75:76], s[2:3], v[71:72]
	v_fma_f64 v[51:52], v[77:78], s[2:3], v[73:74]
	v_fma_f64 v[39:40], v[39:40], 2.0, -v[81:82]
	v_fma_f64 v[37:38], v[37:38], 2.0, -v[79:80]
	v_add_f64_e64 v[17:18], v[13:14], -v[17:18]
	v_add_f64_e64 v[19:20], v[15:16], -v[19:20]
	v_fma_f64 v[45:46], v[53:54], 2.0, -v[83:84]
	v_fma_f64 v[47:48], v[55:56], 2.0, -v[85:86]
	v_fma_f64 v[53:54], v[83:84], s[2:3], v[79:80]
	v_fma_f64 v[55:56], v[85:86], s[2:3], v[81:82]
	v_add_f64_e64 v[29:30], v[25:26], -v[29:30]
	v_add_f64_e64 v[31:32], v[27:28], -v[31:32]
	;; [unrolled: 1-line block ×4, first 2 shown]
	v_fma_f64 v[5:6], v[5:6], 2.0, -v[9:10]
	v_fma_f64 v[7:8], v[7:8], 2.0, -v[11:12]
	v_fma_f64 v[59:60], v[23:24], s[0:1], v[3:4]
	v_fma_f64 v[57:58], v[21:22], s[0:1], v[1:2]
	;; [unrolled: 1-line block ×4, first 2 shown]
	v_fma_f64 v[13:14], v[13:14], 2.0, -v[17:18]
	v_fma_f64 v[15:16], v[15:16], 2.0, -v[19:20]
	v_fma_f64 v[61:62], v[45:46], s[0:1], v[37:38]
	v_fma_f64 v[63:64], v[47:48], s[0:1], v[39:40]
	v_add_f64_e64 v[19:20], v[9:10], -v[19:20]
	v_add_f64_e32 v[17:18], v[11:12], v[17:18]
	v_fma_f64 v[25:26], v[25:26], 2.0, -v[29:30]
	v_fma_f64 v[27:28], v[27:28], 2.0, -v[31:32]
	v_add_f64_e64 v[77:78], v[29:30], -v[41:42]
	v_add_f64_e32 v[87:88], v[31:32], v[43:44]
	v_fma_f64 v[33:34], v[33:34], 2.0, -v[43:44]
	v_fma_f64 v[35:36], v[35:36], 2.0, -v[41:42]
	v_fma_f64 v[41:42], v[85:86], s[0:1], v[53:54]
	v_fma_f64 v[43:44], v[83:84], s[2:3], v[55:56]
	;; [unrolled: 1-line block ×4, first 2 shown]
	v_fma_f64 v[71:72], v[71:72], 2.0, -v[49:50]
	v_fma_f64 v[73:74], v[73:74], 2.0, -v[51:52]
	v_add_f64_e64 v[13:14], v[5:6], -v[13:14]
	v_add_f64_e64 v[15:16], v[7:8], -v[15:16]
	v_fma_f64 v[61:62], v[47:48], s[0:1], v[61:62]
	v_fma_f64 v[63:64], v[45:46], s[2:3], v[63:64]
	v_fma_f64 v[85:86], v[9:10], 2.0, -v[19:20]
	v_fma_f64 v[89:90], v[11:12], 2.0, -v[17:18]
	;; [unrolled: 1-line block ×4, first 2 shown]
	v_add_f64_e64 v[23:24], v[25:26], -v[33:34]
	v_add_f64_e64 v[21:22], v[27:28], -v[35:36]
	v_fma_f64 v[29:30], v[79:80], 2.0, -v[41:42]
	v_fma_f64 v[31:32], v[81:82], 2.0, -v[43:44]
	v_fma_f64 v[33:34], v[77:78], s[2:3], v[19:20]
	v_fma_f64 v[35:36], v[87:88], s[2:3], v[17:18]
	;; [unrolled: 1-line block ×3, first 2 shown]
	v_fma_f64 v[81:82], v[3:4], 2.0, -v[83:84]
	v_fma_f64 v[79:80], v[1:2], 2.0, -v[75:76]
	;; [unrolled: 1-line block ×6, first 2 shown]
	v_fma_f64 v[37:38], v[41:42], s[18:19], v[49:50]
	v_fma_f64 v[93:94], v[61:62], s[16:17], v[75:76]
	;; [unrolled: 1-line block ×5, first 2 shown]
	v_fma_f64 v[25:26], v[25:26], 2.0, -v[23:24]
	v_fma_f64 v[27:28], v[27:28], 2.0, -v[21:22]
	v_fma_f64 v[47:48], v[29:30], s[12:13], v[71:72]
	v_fma_f64 v[91:92], v[31:32], s[12:13], v[73:74]
	v_add_f64_e64 v[21:22], v[13:14], -v[21:22]
	v_add_f64_e32 v[23:24], v[15:16], v[23:24]
	v_fma_f64 v[53:54], v[87:88], s[0:1], v[33:34]
	v_fma_f64 v[55:56], v[77:78], s[2:3], v[35:36]
	;; [unrolled: 1-line block ×9, first 2 shown]
	v_add_f64_e64 v[25:26], v[5:6], -v[25:26]
	v_add_f64_e64 v[27:28], v[7:8], -v[27:28]
	v_fma_f64 v[45:46], v[31:32], s[4:5], v[47:48]
	v_fma_f64 v[47:48], v[29:30], s[18:19], v[91:92]
	v_fma_f64 v[39:40], v[41:42], s[16:17], v[101:102]
	v_fma_f64 v[9:10], v[13:14], 2.0, -v[21:22]
	v_fma_f64 v[11:12], v[15:16], 2.0, -v[23:24]
	;; [unrolled: 1-line block ×4, first 2 shown]
	v_cmp_gt_u32_e64 s0, 0x80, v0
	v_fma_f64 v[29:30], v[3:4], s[12:13], v[97:98]
	v_fma_f64 v[31:32], v[1:2], s[16:17], v[99:100]
	v_fma_f64 v[49:50], v[49:50], 2.0, -v[37:38]
	v_fma_f64 v[13:14], v[75:76], 2.0, -v[33:34]
	;; [unrolled: 1-line block ×12, first 2 shown]
	s_and_saveexec_b32 s1, s0
	s_cbranch_execz .LBB0_15
; %bb.14:
	v_mad_u32_u24 v71, 0xf0, v0, v69
	ds_store_b128 v71, v[1:4]
	ds_store_b128 v71, v[5:8] offset:16
	ds_store_b128 v71, v[41:44] offset:32
	;; [unrolled: 1-line block ×15, first 2 shown]
.LBB0_15:
	s_wait_alu 0xfffe
	s_or_b32 exec_lo, exec_lo, s1
	s_lshl_b64 s[2:3], s[10:11], 3
	global_wb scope:SCOPE_SE
	s_wait_dscnt 0x0
	s_barrier_signal -1
	s_barrier_wait -1
	global_inv scope:SCOPE_SE
	s_and_saveexec_b32 s1, s0
	s_cbranch_execz .LBB0_17
; %bb.16:
	v_or_b32_e32 v21, 0x3800, v70
	v_add_nc_u32_e32 v37, 0, v70
	ds_load_b128 v[1:4], v69
	ds_load_b128 v[5:8], v69 offset:2048
	ds_load_b128 v[41:44], v69 offset:4096
	;; [unrolled: 1-line block ×9, first 2 shown]
	v_add_nc_u32_e32 v38, 0, v21
	v_or_b32_e32 v21, 0x7800, v70
	s_delay_alu instid0(VALU_DEP_1)
	v_add_nc_u32_e32 v39, 0, v21
	ds_load_b128 v[21:24], v69 offset:24576
	ds_load_b128 v[33:36], v69 offset:26624
	;; [unrolled: 1-line block ×4, first 2 shown]
	ds_load_b128 v[49:52], v38
	ds_load_b128 v[37:40], v39
.LBB0_17:
	s_wait_alu 0xfffe
	s_or_b32 exec_lo, exec_lo, s1
	s_add_nc_u64 s[2:3], s[14:15], s[2:3]
	global_wb scope:SCOPE_SE
	s_wait_dscnt 0x0
	s_barrier_signal -1
	s_barrier_wait -1
	global_inv scope:SCOPE_SE
	s_and_saveexec_b32 s10, s0
	s_cbranch_execz .LBB0_19
; %bb.18:
	v_and_b32_e32 v71, 15, v0
	s_mov_b32 s0, 0x667f3bcd
	s_mov_b32 s1, 0x3fe6a09e
	;; [unrolled: 1-line block ×3, first 2 shown]
	s_wait_alu 0xfffe
	s_mov_b32 s4, s0
	v_mul_u32_u24_e32 v72, 15, v71
	s_mov_b32 s12, 0xcf328d46
	s_mov_b32 s13, 0x3fed906b
	;; [unrolled: 1-line block ×4, first 2 shown]
	v_lshlrev_b32_e32 v116, 4, v72
	s_mov_b32 s17, 0xbfd87de2
	s_mov_b32 s16, s14
	;; [unrolled: 1-line block ×3, first 2 shown]
	s_wait_alu 0xfffe
	s_mov_b32 s18, s12
	s_clause 0x8
	global_load_b128 v[72:75], v116, s[8:9] offset:16
	global_load_b128 v[76:79], v116, s[8:9] offset:144
	global_load_b128 v[80:83], v116, s[8:9] offset:80
	global_load_b128 v[84:87], v116, s[8:9] offset:208
	global_load_b128 v[88:91], v116, s[8:9] offset:32
	global_load_b128 v[92:95], v116, s[8:9]
	global_load_b128 v[96:99], v116, s[8:9] offset:160
	global_load_b128 v[100:103], v116, s[8:9] offset:128
	;; [unrolled: 1-line block ×3, first 2 shown]
	v_and_or_b32 v70, 0x700, v70, v71
	s_delay_alu instid0(VALU_DEP_1)
	v_lshl_add_u32 v70, v70, 4, 0
	s_wait_loadcnt 0x8
	v_mul_f64_e32 v[108:109], v[43:44], v[74:75]
	v_mul_f64_e32 v[74:75], v[41:42], v[74:75]
	s_wait_loadcnt 0x7
	v_mul_f64_e32 v[110:111], v[59:60], v[78:79]
	v_mul_f64_e32 v[78:79], v[57:58], v[78:79]
	s_wait_loadcnt 0x6
	v_mul_f64_e32 v[112:113], v[61:62], v[82:83]
	v_fma_f64 v[108:109], v[41:42], v[72:73], -v[108:109]
	v_fma_f64 v[114:115], v[43:44], v[72:73], v[74:75]
	global_load_b128 v[41:44], v116, s[8:9] offset:96
	v_mul_f64_e32 v[72:73], v[63:64], v[82:83]
	v_fma_f64 v[82:83], v[57:58], v[76:77], -v[110:111]
	v_fma_f64 v[110:111], v[59:60], v[76:77], v[78:79]
	s_wait_loadcnt 0x6
	v_mul_f64_e32 v[76:77], v[53:54], v[86:87]
	v_mul_f64_e32 v[78:79], v[55:56], v[86:87]
	global_load_b128 v[57:60], v116, s[8:9] offset:192
	v_fma_f64 v[86:87], v[63:64], v[80:81], v[112:113]
	v_fma_f64 v[80:81], v[61:62], v[80:81], -v[72:73]
	s_clause 0x1
	global_load_b128 v[61:64], v116, s[8:9] offset:224
	global_load_b128 v[72:75], v116, s[8:9] offset:112
	v_fma_f64 v[112:113], v[55:56], v[84:85], v[76:77]
	v_fma_f64 v[84:85], v[53:54], v[84:85], -v[78:79]
	s_clause 0x1
	global_load_b128 v[53:56], v116, s[8:9] offset:48
	global_load_b128 v[76:79], v116, s[8:9] offset:176
	s_wait_loadcnt 0xa
	v_mul_f64_e32 v[116:117], v[19:20], v[90:91]
	v_mul_f64_e32 v[90:91], v[17:18], v[90:91]
	s_delay_alu instid0(VALU_DEP_2) | instskip(NEXT) | instid1(VALU_DEP_2)
	v_fma_f64 v[17:18], v[17:18], v[88:89], -v[116:117]
	v_fma_f64 v[19:20], v[19:20], v[88:89], v[90:91]
	s_wait_loadcnt 0x8
	v_mul_f64_e32 v[88:89], v[47:48], v[98:99]
	v_mul_f64_e32 v[90:91], v[45:46], v[98:99]
	s_delay_alu instid0(VALU_DEP_2) | instskip(NEXT) | instid1(VALU_DEP_2)
	v_fma_f64 v[45:46], v[45:46], v[96:97], -v[88:89]
	v_fma_f64 v[47:48], v[47:48], v[96:97], v[90:91]
	v_mul_f64_e32 v[90:91], v[7:8], v[94:95]
	v_mul_f64_e32 v[94:95], v[5:6], v[94:95]
	s_delay_alu instid0(VALU_DEP_4) | instskip(NEXT) | instid1(VALU_DEP_4)
	v_add_f64_e64 v[45:46], v[17:18], -v[45:46]
	v_add_f64_e64 v[47:48], v[19:20], -v[47:48]
	s_delay_alu instid0(VALU_DEP_4) | instskip(NEXT) | instid1(VALU_DEP_4)
	v_fma_f64 v[5:6], v[5:6], v[92:93], -v[90:91]
	v_fma_f64 v[7:8], v[7:8], v[92:93], v[94:95]
	s_delay_alu instid0(VALU_DEP_4) | instskip(NEXT) | instid1(VALU_DEP_4)
	v_fma_f64 v[17:18], v[17:18], 2.0, -v[45:46]
	v_fma_f64 v[19:20], v[19:20], 2.0, -v[47:48]
	s_wait_loadcnt 0x5
	v_mul_f64_e32 v[98:99], v[49:50], v[43:44]
	v_mul_f64_e32 v[43:44], v[51:52], v[43:44]
	s_delay_alu instid0(VALU_DEP_2) | instskip(SKIP_3) | instid1(VALU_DEP_4)
	v_fma_f64 v[51:52], v[51:52], v[41:42], v[98:99]
	s_wait_loadcnt 0x3
	v_mul_f64_e32 v[88:89], v[37:38], v[63:64]
	v_mul_f64_e32 v[63:64], v[39:40], v[63:64]
	v_fma_f64 v[41:42], v[49:50], v[41:42], -v[43:44]
	v_mul_f64_e32 v[43:44], v[31:32], v[102:103]
	s_wait_loadcnt 0x2
	v_mul_f64_e32 v[49:50], v[25:26], v[74:75]
	s_wait_loadcnt 0x1
	;; [unrolled: 2-line block ×3, first 2 shown]
	v_mul_f64_e32 v[98:99], v[23:24], v[78:79]
	v_mul_f64_e32 v[74:75], v[27:28], v[74:75]
	;; [unrolled: 1-line block ×4, first 2 shown]
	v_fma_f64 v[39:40], v[39:40], v[61:62], v[88:89]
	v_fma_f64 v[37:38], v[37:38], v[61:62], -v[63:64]
	v_mul_f64_e32 v[61:62], v[13:14], v[106:107]
	v_mul_f64_e32 v[63:64], v[33:34], v[59:60]
	;; [unrolled: 1-line block ×5, first 2 shown]
	v_fma_f64 v[29:30], v[29:30], v[100:101], -v[43:44]
	v_fma_f64 v[9:10], v[9:10], v[53:54], -v[96:97]
	;; [unrolled: 1-line block ×3, first 2 shown]
	v_fma_f64 v[27:28], v[27:28], v[72:73], v[49:50]
	v_fma_f64 v[25:26], v[25:26], v[72:73], -v[74:75]
	v_fma_f64 v[11:12], v[11:12], v[53:54], v[55:56]
	v_fma_f64 v[23:24], v[23:24], v[76:77], v[78:79]
	v_add_f64_e64 v[43:44], v[108:109], -v[82:83]
	v_add_f64_e64 v[49:50], v[86:87], -v[112:113]
	;; [unrolled: 1-line block ×6, first 2 shown]
	v_fma_f64 v[15:16], v[15:16], v[104:105], v[61:62]
	v_fma_f64 v[35:36], v[35:36], v[57:58], v[63:64]
	;; [unrolled: 1-line block ×3, first 2 shown]
	v_fma_f64 v[13:14], v[13:14], v[104:105], -v[102:103]
	v_fma_f64 v[33:34], v[33:34], v[57:58], -v[59:60]
	v_add_f64_e64 v[29:30], v[5:6], -v[29:30]
	v_add_f64_e64 v[21:22], v[9:10], -v[21:22]
	;; [unrolled: 1-line block ×5, first 2 shown]
	v_fma_f64 v[82:83], v[108:109], 2.0, -v[43:44]
	v_add_f64_e64 v[57:58], v[43:44], -v[49:50]
	v_add_f64_e32 v[61:62], v[53:54], v[55:56]
	v_fma_f64 v[55:56], v[80:81], 2.0, -v[55:56]
	v_add_f64_e64 v[72:73], v[45:46], -v[39:40]
	v_add_f64_e32 v[74:75], v[47:48], v[37:38]
	v_fma_f64 v[37:38], v[41:42], 2.0, -v[37:38]
	v_add_f64_e64 v[35:36], v[15:16], -v[35:36]
	v_add_f64_e64 v[31:32], v[7:8], -v[31:32]
	v_fma_f64 v[39:40], v[51:52], 2.0, -v[39:40]
	v_add_f64_e64 v[33:34], v[13:14], -v[33:34]
	v_fma_f64 v[5:6], v[5:6], 2.0, -v[29:30]
	v_fma_f64 v[9:10], v[9:10], 2.0, -v[21:22]
	v_add_f64_e32 v[59:60], v[27:28], v[21:22]
	v_fma_f64 v[3:4], v[3:4], 2.0, -v[27:28]
	v_fma_f64 v[1:2], v[1:2], 2.0, -v[25:26]
	v_add_f64_e64 v[78:79], v[25:26], -v[23:24]
	v_fma_f64 v[11:12], v[11:12], 2.0, -v[23:24]
	v_fma_f64 v[23:24], v[114:115], 2.0, -v[53:54]
	;; [unrolled: 1-line block ×3, first 2 shown]
	v_add_f64_e64 v[51:52], v[82:83], -v[55:56]
	v_fma_f64 v[41:42], v[45:46], 2.0, -v[72:73]
	v_fma_f64 v[43:44], v[47:48], 2.0, -v[74:75]
	v_add_f64_e64 v[37:38], v[17:18], -v[37:38]
	v_add_f64_e64 v[63:64], v[29:30], -v[35:36]
	v_fma_f64 v[7:8], v[7:8], 2.0, -v[31:32]
	v_fma_f64 v[15:16], v[15:16], 2.0, -v[35:36]
	v_add_f64_e32 v[76:77], v[31:32], v[33:34]
	v_fma_f64 v[13:14], v[13:14], 2.0, -v[33:34]
	v_fma_f64 v[33:34], v[86:87], 2.0, -v[49:50]
	;; [unrolled: 1-line block ×4, first 2 shown]
	v_fma_f64 v[45:46], v[61:62], s[0:1], v[59:60]
	v_add_f64_e64 v[39:40], v[19:20], -v[39:40]
	v_fma_f64 v[25:26], v[25:26], 2.0, -v[78:79]
	v_add_f64_e64 v[11:12], v[3:4], -v[11:12]
	v_add_f64_e64 v[9:10], v[1:2], -v[9:10]
	v_fma_f64 v[53:54], v[57:58], s[0:1], v[78:79]
	v_fma_f64 v[17:18], v[17:18], 2.0, -v[37:38]
	v_fma_f64 v[29:30], v[29:30], 2.0, -v[63:64]
	v_fma_f64 v[47:48], v[72:73], s[0:1], v[63:64]
	v_add_f64_e64 v[15:16], v[7:8], -v[15:16]
	v_fma_f64 v[31:32], v[31:32], 2.0, -v[76:77]
	v_add_f64_e64 v[13:14], v[5:6], -v[13:14]
	v_add_f64_e64 v[33:34], v[23:24], -v[33:34]
	v_fma_f64 v[49:50], v[74:75], s[0:1], v[76:77]
	v_fma_f64 v[55:56], v[35:36], s[4:5], v[27:28]
	;; [unrolled: 1-line block ×3, first 2 shown]
	v_fma_f64 v[19:20], v[19:20], 2.0, -v[39:40]
	v_fma_f64 v[86:87], v[21:22], s[4:5], v[25:26]
	v_add_f64_e32 v[57:58], v[11:12], v[51:52]
	v_fma_f64 v[3:4], v[3:4], 2.0, -v[11:12]
	v_fma_f64 v[53:54], v[61:62], s[4:5], v[53:54]
	v_fma_f64 v[1:2], v[1:2], 2.0, -v[9:10]
	v_fma_f64 v[80:81], v[41:42], s[4:5], v[29:30]
	v_fma_f64 v[47:48], v[74:75], s[4:5], v[47:48]
	v_add_f64_e32 v[74:75], v[15:16], v[37:38]
	v_fma_f64 v[84:85], v[43:44], s[4:5], v[31:32]
	v_fma_f64 v[5:6], v[5:6], 2.0, -v[13:14]
	v_fma_f64 v[23:24], v[23:24], 2.0, -v[33:34]
	v_fma_f64 v[49:50], v[72:73], s[0:1], v[49:50]
	v_add_f64_e64 v[72:73], v[13:14], -v[39:40]
	v_add_f64_e64 v[33:34], v[9:10], -v[33:34]
	v_fma_f64 v[7:8], v[7:8], 2.0, -v[15:16]
	v_fma_f64 v[39:40], v[82:83], 2.0, -v[51:52]
	v_fma_f64 v[55:56], v[21:22], s[0:1], v[55:56]
	v_fma_f64 v[61:62], v[35:36], s[4:5], v[86:87]
	v_fma_f64 v[51:52], v[59:60], 2.0, -v[45:46]
	v_fma_f64 v[59:60], v[11:12], 2.0, -v[57:58]
	v_fma_f64 v[21:22], v[43:44], s[4:5], v[80:81]
	v_fma_f64 v[35:36], v[63:64], 2.0, -v[47:48]
	v_fma_f64 v[43:44], v[15:16], 2.0, -v[74:75]
	v_fma_f64 v[37:38], v[41:42], s[0:1], v[84:85]
	v_add_f64_e64 v[11:12], v[5:6], -v[17:18]
	v_fma_f64 v[17:18], v[74:75], s[0:1], v[57:58]
	v_fma_f64 v[41:42], v[76:77], 2.0, -v[49:50]
	v_fma_f64 v[13:14], v[13:14], 2.0, -v[72:73]
	;; [unrolled: 1-line block ×4, first 2 shown]
	v_add_f64_e64 v[78:79], v[3:4], -v[23:24]
	v_add_f64_e64 v[9:10], v[7:8], -v[19:20]
	;; [unrolled: 1-line block ×3, first 2 shown]
	v_fma_f64 v[82:83], v[27:28], 2.0, -v[55:56]
	v_fma_f64 v[84:85], v[25:26], 2.0, -v[61:62]
	v_fma_f64 v[19:20], v[72:73], s[0:1], v[33:34]
	v_fma_f64 v[15:16], v[49:50], s[12:13], v[45:46]
	;; [unrolled: 1-line block ×3, first 2 shown]
	v_fma_f64 v[29:30], v[29:30], 2.0, -v[21:22]
	v_fma_f64 v[27:28], v[21:22], s[14:15], v[61:62]
	v_fma_f64 v[86:87], v[43:44], s[4:5], v[59:60]
	v_fma_f64 v[39:40], v[31:32], 2.0, -v[37:38]
	v_fma_f64 v[25:26], v[37:38], s[14:15], v[55:56]
	v_fma_f64 v[98:99], v[5:6], 2.0, -v[11:12]
	v_fma_f64 v[31:32], v[41:42], s[16:17], v[51:52]
	v_fma_f64 v[88:89], v[13:14], s[4:5], v[63:64]
	;; [unrolled: 1-line block ×3, first 2 shown]
	v_fma_f64 v[92:93], v[3:4], 2.0, -v[78:79]
	v_fma_f64 v[94:95], v[7:8], 2.0, -v[9:10]
	;; [unrolled: 1-line block ×3, first 2 shown]
	v_fma_f64 v[7:8], v[72:73], s[0:1], v[17:18]
	v_add_f64_e32 v[11:12], v[78:79], v[11:12]
	v_fma_f64 v[5:6], v[74:75], s[4:5], v[19:20]
	v_fma_f64 v[3:4], v[47:48], s[14:15], v[15:16]
	;; [unrolled: 1-line block ×3, first 2 shown]
	v_add_f64_e64 v[9:10], v[80:81], -v[9:10]
	s_wait_alu 0xfffe
	v_fma_f64 v[102:103], v[29:30], s[18:19], v[84:85]
	v_fma_f64 v[19:20], v[13:14], s[0:1], v[86:87]
	;; [unrolled: 1-line block ×8, first 2 shown]
	v_add_f64_e64 v[27:28], v[92:93], -v[94:95]
	v_add_f64_e64 v[25:26], v[96:97], -v[98:99]
	v_fma_f64 v[43:44], v[78:79], 2.0, -v[11:12]
	v_fma_f64 v[37:38], v[33:34], 2.0, -v[5:6]
	;; [unrolled: 1-line block ×5, first 2 shown]
	v_fma_f64 v[31:32], v[29:30], s[14:15], v[100:101]
	v_fma_f64 v[29:30], v[39:40], s[16:17], v[102:103]
	v_fma_f64 v[39:40], v[57:58], 2.0, -v[7:8]
	v_fma_f64 v[47:48], v[51:52], 2.0, -v[15:16]
	;; [unrolled: 1-line block ×11, first 2 shown]
	ds_store_b128 v70, v[37:40] offset:1536
	ds_store_b128 v70, v[33:36] offset:1792
	;; [unrolled: 1-line block ×12, first 2 shown]
	ds_store_b128 v70, v[57:60]
	ds_store_b128 v70, v[61:64] offset:256
	ds_store_b128 v70, v[5:8] offset:3584
	;; [unrolled: 1-line block ×3, first 2 shown]
.LBB0_19:
	s_wait_alu 0xfffe
	s_or_b32 exec_lo, exec_lo, s10
	v_mul_u32_u24_e32 v1, 7, v0
	s_load_b64 s[2:3], s[2:3], 0x0
	global_wb scope:SCOPE_SE
	s_wait_dscnt 0x0
	s_wait_kmcnt 0x0
	s_barrier_signal -1
	s_barrier_wait -1
	v_lshlrev_b32_e32 v25, 4, v1
	global_inv scope:SCOPE_SE
	s_mov_b32 s0, 0x667f3bcd
	s_mov_b32 s1, 0xbfe6a09e
	;; [unrolled: 1-line block ×3, first 2 shown]
	s_clause 0x6
	global_load_b128 v[1:4], v25, s[8:9] offset:3840
	global_load_b128 v[5:8], v25, s[8:9] offset:3856
	;; [unrolled: 1-line block ×7, first 2 shown]
	ds_load_b128 v[29:32], v69 offset:4096
	ds_load_b128 v[33:36], v69 offset:8192
	ds_load_b128 v[37:40], v69 offset:16384
	ds_load_b128 v[41:44], v69 offset:24576
	ds_load_b128 v[45:48], v69 offset:20480
	ds_load_b128 v[49:52], v69 offset:12288
	ds_load_b128 v[53:56], v69 offset:28672
	s_wait_alu 0xfffe
	s_mov_b32 s4, s0
	s_wait_loadcnt_dscnt 0x606
	v_mul_f64_e32 v[57:58], v[31:32], v[3:4]
	v_mul_f64_e32 v[3:4], v[29:30], v[3:4]
	s_wait_loadcnt_dscnt 0x505
	v_mul_f64_e32 v[59:60], v[35:36], v[7:8]
	v_mul_f64_e32 v[7:8], v[33:34], v[7:8]
	;; [unrolled: 3-line block ×7, first 2 shown]
	v_fma_f64 v[29:30], v[29:30], v[1:2], -v[57:58]
	v_fma_f64 v[31:32], v[31:32], v[1:2], v[3:4]
	v_fma_f64 v[33:34], v[33:34], v[5:6], -v[59:60]
	v_fma_f64 v[5:6], v[35:36], v[5:6], v[7:8]
	;; [unrolled: 2-line block ×7, first 2 shown]
	ds_load_b128 v[1:4], v69
	global_wb scope:SCOPE_SE
	s_wait_dscnt 0x0
	s_barrier_signal -1
	s_barrier_wait -1
	global_inv scope:SCOPE_SE
	v_add_f64_e64 v[7:8], v[1:2], -v[7:8]
	v_add_f64_e64 v[9:10], v[3:4], -v[9:10]
	;; [unrolled: 1-line block ×8, first 2 shown]
	v_fma_f64 v[1:2], v[1:2], 2.0, -v[7:8]
	v_fma_f64 v[3:4], v[3:4], 2.0, -v[9:10]
	;; [unrolled: 1-line block ×6, first 2 shown]
	v_add_f64_e64 v[13:14], v[7:8], -v[13:14]
	v_add_f64_e32 v[11:12], v[9:10], v[11:12]
	v_fma_f64 v[19:20], v[19:20], 2.0, -v[23:24]
	v_fma_f64 v[21:22], v[21:22], 2.0, -v[25:26]
	v_add_f64_e64 v[25:26], v[15:16], -v[25:26]
	v_add_f64_e32 v[23:24], v[17:18], v[23:24]
	v_add_f64_e64 v[27:28], v[1:2], -v[27:28]
	v_add_f64_e64 v[33:34], v[3:4], -v[5:6]
	v_fma_f64 v[35:36], v[7:8], 2.0, -v[13:14]
	v_fma_f64 v[9:10], v[9:10], 2.0, -v[11:12]
	v_add_f64_e64 v[5:6], v[29:30], -v[19:20]
	v_add_f64_e64 v[7:8], v[31:32], -v[21:22]
	v_fma_f64 v[21:22], v[15:16], 2.0, -v[25:26]
	v_fma_f64 v[19:20], v[17:18], 2.0, -v[23:24]
	s_wait_alu 0xfffe
	v_fma_f64 v[15:16], v[25:26], s[4:5], v[13:14]
	v_fma_f64 v[43:44], v[23:24], s[4:5], v[11:12]
	v_fma_f64 v[37:38], v[1:2], 2.0, -v[27:28]
	v_fma_f64 v[39:40], v[3:4], 2.0, -v[33:34]
	;; [unrolled: 1-line block ×4, first 2 shown]
	v_fma_f64 v[31:32], v[21:22], s[0:1], v[35:36]
	v_fma_f64 v[41:42], v[19:20], s[0:1], v[9:10]
	v_add_f64_e64 v[1:2], v[27:28], -v[7:8]
	v_add_f64_e32 v[3:4], v[33:34], v[5:6]
	v_fma_f64 v[5:6], v[23:24], s[0:1], v[15:16]
	v_fma_f64 v[7:8], v[25:26], s[4:5], v[43:44]
	v_add_f64_e64 v[15:16], v[37:38], -v[17:18]
	v_add_f64_e64 v[17:18], v[39:40], -v[29:30]
	v_fma_f64 v[19:20], v[19:20], s[0:1], v[31:32]
	v_fma_f64 v[21:22], v[21:22], s[4:5], v[41:42]
	v_fma_f64 v[23:24], v[27:28], 2.0, -v[1:2]
	v_fma_f64 v[25:26], v[33:34], 2.0, -v[3:4]
	;; [unrolled: 1-line block ×4, first 2 shown]
	v_or_b32_e32 v14, 0x300, v0
	s_mov_b32 s1, exec_lo
	s_delay_alu instid0(VALU_DEP_1)
	v_lshl_add_u32 v12, v14, 4, 0
	v_fma_f64 v[31:32], v[37:38], 2.0, -v[15:16]
	v_fma_f64 v[33:34], v[39:40], 2.0, -v[17:18]
	;; [unrolled: 1-line block ×4, first 2 shown]
	v_lshl_add_u32 v9, v0, 4, 0
                                        ; implicit-def: $vgpr10_vgpr11
	ds_store_b128 v69, v[23:26] offset:8192
	ds_store_b128 v69, v[31:34]
	ds_store_b128 v69, v[35:38] offset:4096
	ds_store_b128 v12, v[27:30]
	ds_store_b128 v69, v[15:18] offset:16384
	ds_store_b128 v69, v[19:22] offset:20480
	;; [unrolled: 1-line block ×4, first 2 shown]
	global_wb scope:SCOPE_SE
	s_wait_dscnt 0x0
	s_barrier_signal -1
	s_barrier_wait -1
	global_inv scope:SCOPE_SE
	ds_load_b128 v[2:5], v69
	v_lshlrev_b32_e32 v1, 4, v0
                                        ; implicit-def: $vgpr8_vgpr9
                                        ; implicit-def: $vgpr6_vgpr7
	s_delay_alu instid0(VALU_DEP_1)
	v_sub_nc_u32_e32 v13, 0, v1
	v_cmpx_ne_u32_e32 0, v0
	s_wait_alu 0xfffe
	s_xor_b32 s1, exec_lo, s1
	s_cbranch_execz .LBB0_21
; %bb.20:
	v_mov_b32_e32 v1, 0
	ds_load_b128 v[15:18], v13 offset:32768
	v_lshlrev_b64_e32 v[6:7], 4, v[0:1]
	s_delay_alu instid0(VALU_DEP_1) | instskip(SKIP_1) | instid1(VALU_DEP_2)
	v_add_co_u32 v6, s0, s8, v6
	s_wait_alu 0xf1ff
	v_add_co_ci_u32_e64 v7, s0, s9, v7, s0
	global_load_b128 v[8:11], v[6:7], off offset:32512
	s_wait_dscnt 0x0
	v_add_f64_e64 v[6:7], v[2:3], -v[15:16]
	v_add_f64_e32 v[19:20], v[4:5], v[17:18]
	v_add_f64_e64 v[4:5], v[4:5], -v[17:18]
	v_add_f64_e32 v[2:3], v[2:3], v[15:16]
	s_delay_alu instid0(VALU_DEP_4) | instskip(NEXT) | instid1(VALU_DEP_4)
	v_mul_f64_e32 v[6:7], 0.5, v[6:7]
	v_mul_f64_e32 v[17:18], 0.5, v[19:20]
	s_delay_alu instid0(VALU_DEP_4) | instskip(SKIP_1) | instid1(VALU_DEP_3)
	v_mul_f64_e32 v[4:5], 0.5, v[4:5]
	s_wait_loadcnt 0x0
	v_mul_f64_e32 v[15:16], v[6:7], v[10:11]
	s_delay_alu instid0(VALU_DEP_2) | instskip(SKIP_1) | instid1(VALU_DEP_3)
	v_fma_f64 v[19:20], v[17:18], v[10:11], v[4:5]
	v_fma_f64 v[4:5], v[17:18], v[10:11], -v[4:5]
	v_fma_f64 v[10:11], v[2:3], 0.5, v[15:16]
	v_fma_f64 v[2:3], v[2:3], 0.5, -v[15:16]
	s_delay_alu instid0(VALU_DEP_4) | instskip(NEXT) | instid1(VALU_DEP_4)
	v_fma_f64 v[15:16], -v[8:9], v[6:7], v[19:20]
	v_fma_f64 v[4:5], -v[8:9], v[6:7], v[4:5]
	ds_store_b64 v69, v[15:16] offset:8
	ds_store_b64 v13, v[4:5] offset:32776
	v_fma_f64 v[6:7], v[17:18], v[8:9], v[10:11]
	v_fma_f64 v[8:9], -v[17:18], v[8:9], v[2:3]
	v_dual_mov_b32 v11, v1 :: v_dual_mov_b32 v10, v0
                                        ; implicit-def: $vgpr2_vgpr3
.LBB0_21:
	s_wait_alu 0xfffe
	s_and_not1_saveexec_b32 s0, s1
	s_cbranch_execz .LBB0_23
; %bb.22:
	s_wait_dscnt 0x0
	v_add_f64_e32 v[6:7], v[2:3], v[4:5]
	v_add_f64_e64 v[8:9], v[2:3], -v[4:5]
	s_mov_b32 s4, 0
	v_dual_mov_b32 v3, 0 :: v_dual_mov_b32 v10, 0
	s_wait_alu 0xfffe
	s_mov_b32 s5, s4
	s_wait_alu 0xfffe
	v_dual_mov_b32 v1, s4 :: v_dual_mov_b32 v2, s5
	v_mov_b32_e32 v11, 0
	ds_store_b64 v69, v[1:2] offset:8
	ds_store_b64 v13, v[1:2] offset:32776
	ds_load_b64 v[1:2], v3 offset:16392
	s_wait_dscnt 0x0
	v_xor_b32_e32 v2, 0x80000000, v2
	ds_store_b64 v3, v[1:2] offset:16392
.LBB0_23:
	s_wait_alu 0xfffe
	s_or_b32 exec_lo, exec_lo, s0
	s_wait_dscnt 0x0
	v_lshlrev_b64_e32 v[1:2], 4, v[10:11]
	s_add_nc_u64 s[0:1], s[8:9], 0x7f00
	s_wait_alu 0xfffe
	s_delay_alu instid0(VALU_DEP_1) | instskip(SKIP_1) | instid1(VALU_DEP_2)
	v_add_co_u32 v10, s0, s0, v1
	s_wait_alu 0xf1ff
	v_add_co_ci_u32_e64 v11, s0, s1, v2, s0
	s_clause 0x1
	global_load_b128 v[1:4], v[10:11], off offset:4096
	global_load_b128 v[15:18], v[10:11], off offset:8192
	ds_store_b64 v69, v[6:7]
	ds_store_b64 v13, v[8:9] offset:32768
	ds_load_b128 v[5:8], v69 offset:4096
	ds_load_b128 v[19:22], v13 offset:28672
	v_add_nc_u32_e32 v11, 0x1000, v69
	s_wait_dscnt 0x0
	v_add_f64_e64 v[9:10], v[5:6], -v[19:20]
	v_add_f64_e32 v[23:24], v[7:8], v[21:22]
	v_add_f64_e64 v[7:8], v[7:8], -v[21:22]
	v_add_f64_e32 v[5:6], v[5:6], v[19:20]
	s_delay_alu instid0(VALU_DEP_4) | instskip(NEXT) | instid1(VALU_DEP_4)
	v_mul_f64_e32 v[9:10], 0.5, v[9:10]
	v_mul_f64_e32 v[21:22], 0.5, v[23:24]
	s_delay_alu instid0(VALU_DEP_4) | instskip(SKIP_1) | instid1(VALU_DEP_3)
	v_mul_f64_e32 v[7:8], 0.5, v[7:8]
	s_wait_loadcnt 0x1
	v_mul_f64_e32 v[19:20], v[9:10], v[3:4]
	s_delay_alu instid0(VALU_DEP_2) | instskip(SKIP_1) | instid1(VALU_DEP_3)
	v_fma_f64 v[23:24], v[21:22], v[3:4], v[7:8]
	v_fma_f64 v[3:4], v[21:22], v[3:4], -v[7:8]
	v_fma_f64 v[7:8], v[5:6], 0.5, v[19:20]
	v_fma_f64 v[5:6], v[5:6], 0.5, -v[19:20]
	s_delay_alu instid0(VALU_DEP_4) | instskip(NEXT) | instid1(VALU_DEP_4)
	v_fma_f64 v[19:20], -v[1:2], v[9:10], v[23:24]
	v_fma_f64 v[3:4], -v[1:2], v[9:10], v[3:4]
	s_delay_alu instid0(VALU_DEP_4) | instskip(NEXT) | instid1(VALU_DEP_4)
	v_fma_f64 v[9:10], v[21:22], v[1:2], v[7:8]
	v_fma_f64 v[1:2], -v[21:22], v[1:2], v[5:6]
	v_lshlrev_b32_e32 v5, 4, v14
	global_load_b128 v[5:8], v5, s[8:9] offset:32512
	ds_store_2addr_b64 v11, v[9:10], v[19:20] offset1:1
	ds_store_b128 v13, v[1:4] offset:28672
	ds_load_b128 v[1:4], v69 offset:8192
	ds_load_b128 v[19:22], v13 offset:24576
	v_add_nc_u32_e32 v11, 0x2000, v69
	s_wait_dscnt 0x0
	v_add_f64_e64 v[9:10], v[1:2], -v[19:20]
	v_add_f64_e32 v[23:24], v[3:4], v[21:22]
	v_add_f64_e64 v[3:4], v[3:4], -v[21:22]
	v_add_f64_e32 v[1:2], v[1:2], v[19:20]
	s_delay_alu instid0(VALU_DEP_4) | instskip(NEXT) | instid1(VALU_DEP_4)
	v_mul_f64_e32 v[9:10], 0.5, v[9:10]
	v_mul_f64_e32 v[21:22], 0.5, v[23:24]
	s_delay_alu instid0(VALU_DEP_4) | instskip(SKIP_1) | instid1(VALU_DEP_3)
	v_mul_f64_e32 v[3:4], 0.5, v[3:4]
	s_wait_loadcnt 0x1
	v_mul_f64_e32 v[19:20], v[9:10], v[17:18]
	s_delay_alu instid0(VALU_DEP_2) | instskip(SKIP_1) | instid1(VALU_DEP_3)
	v_fma_f64 v[23:24], v[21:22], v[17:18], v[3:4]
	v_fma_f64 v[3:4], v[21:22], v[17:18], -v[3:4]
	v_fma_f64 v[17:18], v[1:2], 0.5, v[19:20]
	v_fma_f64 v[1:2], v[1:2], 0.5, -v[19:20]
	s_delay_alu instid0(VALU_DEP_4) | instskip(NEXT) | instid1(VALU_DEP_4)
	v_fma_f64 v[19:20], -v[15:16], v[9:10], v[23:24]
	v_fma_f64 v[3:4], -v[15:16], v[9:10], v[3:4]
	s_delay_alu instid0(VALU_DEP_4) | instskip(NEXT) | instid1(VALU_DEP_4)
	v_fma_f64 v[9:10], v[21:22], v[15:16], v[17:18]
	v_fma_f64 v[1:2], -v[21:22], v[15:16], v[1:2]
	ds_store_2addr_b64 v11, v[9:10], v[19:20] offset1:1
	ds_store_b128 v13, v[1:4] offset:24576
	ds_load_b128 v[1:4], v12
	ds_load_b128 v[14:17], v13 offset:20480
	s_wait_dscnt 0x0
	v_add_f64_e64 v[9:10], v[1:2], -v[14:15]
	v_add_f64_e32 v[18:19], v[3:4], v[16:17]
	v_add_f64_e64 v[3:4], v[3:4], -v[16:17]
	v_add_f64_e32 v[1:2], v[1:2], v[14:15]
	s_delay_alu instid0(VALU_DEP_4) | instskip(NEXT) | instid1(VALU_DEP_4)
	v_mul_f64_e32 v[9:10], 0.5, v[9:10]
	v_mul_f64_e32 v[16:17], 0.5, v[18:19]
	s_delay_alu instid0(VALU_DEP_4) | instskip(SKIP_1) | instid1(VALU_DEP_3)
	v_mul_f64_e32 v[3:4], 0.5, v[3:4]
	s_wait_loadcnt 0x0
	v_mul_f64_e32 v[14:15], v[9:10], v[7:8]
	s_delay_alu instid0(VALU_DEP_2) | instskip(SKIP_1) | instid1(VALU_DEP_3)
	v_fma_f64 v[18:19], v[16:17], v[7:8], v[3:4]
	v_fma_f64 v[3:4], v[16:17], v[7:8], -v[3:4]
	v_fma_f64 v[7:8], v[1:2], 0.5, v[14:15]
	v_fma_f64 v[1:2], v[1:2], 0.5, -v[14:15]
	s_delay_alu instid0(VALU_DEP_4) | instskip(NEXT) | instid1(VALU_DEP_4)
	v_fma_f64 v[14:15], -v[5:6], v[9:10], v[18:19]
	v_fma_f64 v[3:4], -v[5:6], v[9:10], v[3:4]
	s_delay_alu instid0(VALU_DEP_4) | instskip(NEXT) | instid1(VALU_DEP_4)
	v_fma_f64 v[7:8], v[16:17], v[5:6], v[7:8]
	v_fma_f64 v[1:2], -v[16:17], v[5:6], v[1:2]
	ds_store_2addr_b64 v12, v[7:8], v[14:15] offset1:1
	ds_store_b128 v13, v[1:4] offset:20480
	global_wb scope:SCOPE_SE
	s_wait_dscnt 0x0
	s_barrier_signal -1
	s_barrier_wait -1
	global_inv scope:SCOPE_SE
	s_and_saveexec_b32 s0, vcc_lo
	s_cbranch_execz .LBB0_26
; %bb.24:
	v_mul_lo_u32 v4, s3, v67
	v_mul_lo_u32 v5, s2, v68
	v_mad_co_u64_u32 v[2:3], null, s2, v67, 0
	v_dual_mov_b32 v1, 0 :: v_dual_add_nc_u32 v14, 0x100, v0
	v_lshlrev_b64_e32 v[12:13], 4, v[65:66]
	v_lshl_add_u32 v30, v0, 4, 0
	s_delay_alu instid0(VALU_DEP_3)
	v_dual_mov_b32 v15, v1 :: v_dual_add_nc_u32 v16, 0x200, v0
	v_add3_u32 v3, v3, v5, v4
	v_lshlrev_b64_e32 v[18:19], 4, v[0:1]
	v_dual_mov_b32 v17, v1 :: v_dual_add_nc_u32 v26, 0x300, v0
	ds_load_b128 v[4:7], v30
	ds_load_b128 v[8:11], v30 offset:4096
	v_lshlrev_b64_e32 v[2:3], 4, v[2:3]
	v_lshlrev_b64_e32 v[20:21], 4, v[14:15]
	;; [unrolled: 1-line block ×3, first 2 shown]
	v_dual_mov_b32 v27, v1 :: v_dual_add_nc_u32 v28, 0x400, v0
	v_mov_b32_e32 v29, v1
	v_add_co_u32 v2, vcc_lo, s6, v2
	s_wait_alu 0xfffd
	v_add_co_ci_u32_e32 v3, vcc_lo, s7, v3, vcc_lo
	v_lshlrev_b64_e32 v[26:27], 4, v[26:27]
	s_delay_alu instid0(VALU_DEP_3) | instskip(SKIP_1) | instid1(VALU_DEP_3)
	v_add_co_u32 v2, vcc_lo, v2, v12
	s_wait_alu 0xfffd
	v_add_co_ci_u32_e32 v3, vcc_lo, v3, v13, vcc_lo
	s_delay_alu instid0(VALU_DEP_2) | instskip(SKIP_1) | instid1(VALU_DEP_2)
	v_add_co_u32 v24, vcc_lo, v2, v18
	s_wait_alu 0xfffd
	v_add_co_ci_u32_e32 v25, vcc_lo, v3, v19, vcc_lo
	ds_load_b128 v[12:15], v30 offset:8192
	ds_load_b128 v[16:19], v30 offset:12288
	v_add_co_u32 v20, vcc_lo, v2, v20
	s_wait_alu 0xfffd
	v_add_co_ci_u32_e32 v21, vcc_lo, v3, v21, vcc_lo
	v_add_co_u32 v22, vcc_lo, v2, v22
	s_wait_alu 0xfffd
	v_add_co_ci_u32_e32 v23, vcc_lo, v3, v23, vcc_lo
	;; [unrolled: 3-line block ×3, first 2 shown]
	s_wait_dscnt 0x3
	global_store_b128 v[24:25], v[4:7], off
	s_wait_dscnt 0x2
	global_store_b128 v[20:21], v[8:11], off
	;; [unrolled: 2-line block ×4, first 2 shown]
	v_add_nc_u32_e32 v12, 0x500, v0
	v_lshlrev_b64_e32 v[4:5], 4, v[28:29]
	v_dual_mov_b32 v13, v1 :: v_dual_add_nc_u32 v14, 0x600, v0
	v_dual_mov_b32 v15, v1 :: v_dual_add_nc_u32 v26, 0x700, v0
	v_mov_b32_e32 v27, v1
	s_delay_alu instid0(VALU_DEP_4)
	v_add_co_u32 v20, vcc_lo, v2, v4
	s_wait_alu 0xfffd
	v_add_co_ci_u32_e32 v21, vcc_lo, v3, v5, vcc_lo
	ds_load_b128 v[4:7], v30 offset:16384
	ds_load_b128 v[8:11], v30 offset:20480
	v_lshlrev_b64_e32 v[22:23], 4, v[12:13]
	v_lshlrev_b64_e32 v[24:25], 4, v[14:15]
	ds_load_b128 v[12:15], v30 offset:24576
	ds_load_b128 v[16:19], v30 offset:28672
	v_lshlrev_b64_e32 v[26:27], 4, v[26:27]
	v_add_co_u32 v22, vcc_lo, v2, v22
	s_wait_alu 0xfffd
	v_add_co_ci_u32_e32 v23, vcc_lo, v3, v23, vcc_lo
	v_add_co_u32 v24, vcc_lo, v2, v24
	s_wait_alu 0xfffd
	v_add_co_ci_u32_e32 v25, vcc_lo, v3, v25, vcc_lo
	;; [unrolled: 3-line block ×3, first 2 shown]
	v_cmp_eq_u32_e32 vcc_lo, 0xff, v0
	s_wait_dscnt 0x3
	global_store_b128 v[20:21], v[4:7], off
	s_wait_dscnt 0x2
	global_store_b128 v[22:23], v[8:11], off
	;; [unrolled: 2-line block ×4, first 2 shown]
	s_and_b32 exec_lo, exec_lo, vcc_lo
	s_cbranch_execz .LBB0_26
; %bb.25:
	ds_load_b128 v[4:7], v1 offset:32768
	s_wait_dscnt 0x0
	global_store_b128 v[2:3], v[4:7], off offset:32768
.LBB0_26:
	s_nop 0
	s_sendmsg sendmsg(MSG_DEALLOC_VGPRS)
	s_endpgm
	.section	.rodata,"a",@progbits
	.p2align	6, 0x0
	.amdhsa_kernel fft_rtc_fwd_len2048_factors_16_16_8_wgs_256_tpt_256_halfLds_dp_op_CI_CI_unitstride_sbrr_R2C_dirReg
		.amdhsa_group_segment_fixed_size 0
		.amdhsa_private_segment_fixed_size 0
		.amdhsa_kernarg_size 104
		.amdhsa_user_sgpr_count 2
		.amdhsa_user_sgpr_dispatch_ptr 0
		.amdhsa_user_sgpr_queue_ptr 0
		.amdhsa_user_sgpr_kernarg_segment_ptr 1
		.amdhsa_user_sgpr_dispatch_id 0
		.amdhsa_user_sgpr_private_segment_size 0
		.amdhsa_wavefront_size32 1
		.amdhsa_uses_dynamic_stack 0
		.amdhsa_enable_private_segment 0
		.amdhsa_system_sgpr_workgroup_id_x 1
		.amdhsa_system_sgpr_workgroup_id_y 0
		.amdhsa_system_sgpr_workgroup_id_z 0
		.amdhsa_system_sgpr_workgroup_info 0
		.amdhsa_system_vgpr_workitem_id 0
		.amdhsa_next_free_vgpr 118
		.amdhsa_next_free_sgpr 39
		.amdhsa_reserve_vcc 1
		.amdhsa_float_round_mode_32 0
		.amdhsa_float_round_mode_16_64 0
		.amdhsa_float_denorm_mode_32 3
		.amdhsa_float_denorm_mode_16_64 3
		.amdhsa_fp16_overflow 0
		.amdhsa_workgroup_processor_mode 1
		.amdhsa_memory_ordered 1
		.amdhsa_forward_progress 0
		.amdhsa_round_robin_scheduling 0
		.amdhsa_exception_fp_ieee_invalid_op 0
		.amdhsa_exception_fp_denorm_src 0
		.amdhsa_exception_fp_ieee_div_zero 0
		.amdhsa_exception_fp_ieee_overflow 0
		.amdhsa_exception_fp_ieee_underflow 0
		.amdhsa_exception_fp_ieee_inexact 0
		.amdhsa_exception_int_div_zero 0
	.end_amdhsa_kernel
	.text
.Lfunc_end0:
	.size	fft_rtc_fwd_len2048_factors_16_16_8_wgs_256_tpt_256_halfLds_dp_op_CI_CI_unitstride_sbrr_R2C_dirReg, .Lfunc_end0-fft_rtc_fwd_len2048_factors_16_16_8_wgs_256_tpt_256_halfLds_dp_op_CI_CI_unitstride_sbrr_R2C_dirReg
                                        ; -- End function
	.section	.AMDGPU.csdata,"",@progbits
; Kernel info:
; codeLenInByte = 8260
; NumSgprs: 41
; NumVgprs: 118
; ScratchSize: 0
; MemoryBound: 0
; FloatMode: 240
; IeeeMode: 1
; LDSByteSize: 0 bytes/workgroup (compile time only)
; SGPRBlocks: 5
; VGPRBlocks: 14
; NumSGPRsForWavesPerEU: 41
; NumVGPRsForWavesPerEU: 118
; Occupancy: 12
; WaveLimiterHint : 1
; COMPUTE_PGM_RSRC2:SCRATCH_EN: 0
; COMPUTE_PGM_RSRC2:USER_SGPR: 2
; COMPUTE_PGM_RSRC2:TRAP_HANDLER: 0
; COMPUTE_PGM_RSRC2:TGID_X_EN: 1
; COMPUTE_PGM_RSRC2:TGID_Y_EN: 0
; COMPUTE_PGM_RSRC2:TGID_Z_EN: 0
; COMPUTE_PGM_RSRC2:TIDIG_COMP_CNT: 0
	.text
	.p2alignl 7, 3214868480
	.fill 96, 4, 3214868480
	.type	__hip_cuid_8d56845ede9f8ae7,@object ; @__hip_cuid_8d56845ede9f8ae7
	.section	.bss,"aw",@nobits
	.globl	__hip_cuid_8d56845ede9f8ae7
__hip_cuid_8d56845ede9f8ae7:
	.byte	0                               ; 0x0
	.size	__hip_cuid_8d56845ede9f8ae7, 1

	.ident	"AMD clang version 19.0.0git (https://github.com/RadeonOpenCompute/llvm-project roc-6.4.0 25133 c7fe45cf4b819c5991fe208aaa96edf142730f1d)"
	.section	".note.GNU-stack","",@progbits
	.addrsig
	.addrsig_sym __hip_cuid_8d56845ede9f8ae7
	.amdgpu_metadata
---
amdhsa.kernels:
  - .args:
      - .actual_access:  read_only
        .address_space:  global
        .offset:         0
        .size:           8
        .value_kind:     global_buffer
      - .offset:         8
        .size:           8
        .value_kind:     by_value
      - .actual_access:  read_only
        .address_space:  global
        .offset:         16
        .size:           8
        .value_kind:     global_buffer
      - .actual_access:  read_only
        .address_space:  global
        .offset:         24
        .size:           8
        .value_kind:     global_buffer
      - .actual_access:  read_only
        .address_space:  global
        .offset:         32
        .size:           8
        .value_kind:     global_buffer
      - .offset:         40
        .size:           8
        .value_kind:     by_value
      - .actual_access:  read_only
        .address_space:  global
        .offset:         48
        .size:           8
        .value_kind:     global_buffer
      - .actual_access:  read_only
        .address_space:  global
        .offset:         56
        .size:           8
        .value_kind:     global_buffer
      - .offset:         64
        .size:           4
        .value_kind:     by_value
      - .actual_access:  read_only
        .address_space:  global
        .offset:         72
        .size:           8
        .value_kind:     global_buffer
      - .actual_access:  read_only
        .address_space:  global
        .offset:         80
        .size:           8
        .value_kind:     global_buffer
      - .actual_access:  read_only
        .address_space:  global
        .offset:         88
        .size:           8
        .value_kind:     global_buffer
      - .actual_access:  write_only
        .address_space:  global
        .offset:         96
        .size:           8
        .value_kind:     global_buffer
    .group_segment_fixed_size: 0
    .kernarg_segment_align: 8
    .kernarg_segment_size: 104
    .language:       OpenCL C
    .language_version:
      - 2
      - 0
    .max_flat_workgroup_size: 256
    .name:           fft_rtc_fwd_len2048_factors_16_16_8_wgs_256_tpt_256_halfLds_dp_op_CI_CI_unitstride_sbrr_R2C_dirReg
    .private_segment_fixed_size: 0
    .sgpr_count:     41
    .sgpr_spill_count: 0
    .symbol:         fft_rtc_fwd_len2048_factors_16_16_8_wgs_256_tpt_256_halfLds_dp_op_CI_CI_unitstride_sbrr_R2C_dirReg.kd
    .uniform_work_group_size: 1
    .uses_dynamic_stack: false
    .vgpr_count:     118
    .vgpr_spill_count: 0
    .wavefront_size: 32
    .workgroup_processor_mode: 1
amdhsa.target:   amdgcn-amd-amdhsa--gfx1201
amdhsa.version:
  - 1
  - 2
...

	.end_amdgpu_metadata
